;; amdgpu-corpus repo=ROCm/rocFFT kind=compiled arch=gfx906 opt=O3
	.text
	.amdgcn_target "amdgcn-amd-amdhsa--gfx906"
	.amdhsa_code_object_version 6
	.protected	fft_rtc_fwd_len297_factors_9_3_11_wgs_231_tpt_33_halfLds_sp_op_CI_CI_unitstride_sbrr_dirReg ; -- Begin function fft_rtc_fwd_len297_factors_9_3_11_wgs_231_tpt_33_halfLds_sp_op_CI_CI_unitstride_sbrr_dirReg
	.globl	fft_rtc_fwd_len297_factors_9_3_11_wgs_231_tpt_33_halfLds_sp_op_CI_CI_unitstride_sbrr_dirReg
	.p2align	8
	.type	fft_rtc_fwd_len297_factors_9_3_11_wgs_231_tpt_33_halfLds_sp_op_CI_CI_unitstride_sbrr_dirReg,@function
fft_rtc_fwd_len297_factors_9_3_11_wgs_231_tpt_33_halfLds_sp_op_CI_CI_unitstride_sbrr_dirReg: ; @fft_rtc_fwd_len297_factors_9_3_11_wgs_231_tpt_33_halfLds_sp_op_CI_CI_unitstride_sbrr_dirReg
; %bb.0:
	v_mul_u32_u24_e32 v1, 0x7c2, v0
	s_load_dwordx4 s[8:11], s[4:5], 0x58
	s_load_dwordx4 s[12:15], s[4:5], 0x0
	;; [unrolled: 1-line block ×3, first 2 shown]
	v_lshrrev_b32_e32 v1, 16, v1
	v_mad_u64_u32 v[6:7], s[0:1], s6, 7, v[1:2]
	v_mov_b32_e32 v3, 0
	s_waitcnt lgkmcnt(0)
	v_cmp_lt_u64_e64 s[0:1], s[14:15], 2
	v_mov_b32_e32 v8, 0
	v_mov_b32_e32 v7, v3
	;; [unrolled: 1-line block ×5, first 2 shown]
	s_and_b64 vcc, exec, s[0:1]
	v_mov_b32_e32 v2, v9
	v_mov_b32_e32 v5, v7
	s_cbranch_vccnz .LBB0_8
; %bb.1:
	s_load_dwordx2 s[0:1], s[4:5], 0x10
	s_add_u32 s2, s18, 8
	s_addc_u32 s3, s19, 0
	s_add_u32 s6, s16, 8
	s_addc_u32 s7, s17, 0
	v_mov_b32_e32 v8, 0
	s_waitcnt lgkmcnt(0)
	s_add_u32 s20, s0, 8
	v_mov_b32_e32 v9, 0
	v_mov_b32_e32 v1, v8
	;; [unrolled: 1-line block ×3, first 2 shown]
	s_addc_u32 s21, s1, 0
	s_mov_b64 s[22:23], 1
	v_mov_b32_e32 v2, v9
	v_mov_b32_e32 v10, v6
.LBB0_2:                                ; =>This Inner Loop Header: Depth=1
	s_load_dwordx2 s[24:25], s[20:21], 0x0
	s_waitcnt lgkmcnt(0)
	v_or_b32_e32 v4, s25, v11
	v_cmp_ne_u64_e32 vcc, 0, v[3:4]
                                        ; implicit-def: $vgpr4_vgpr5
	s_and_saveexec_b64 s[0:1], vcc
	s_xor_b64 s[26:27], exec, s[0:1]
	s_cbranch_execz .LBB0_4
; %bb.3:                                ;   in Loop: Header=BB0_2 Depth=1
	v_cvt_f32_u32_e32 v4, s24
	v_cvt_f32_u32_e32 v5, s25
	s_sub_u32 s0, 0, s24
	s_subb_u32 s1, 0, s25
	v_mac_f32_e32 v4, 0x4f800000, v5
	v_rcp_f32_e32 v4, v4
	v_mul_f32_e32 v4, 0x5f7ffffc, v4
	v_mul_f32_e32 v5, 0x2f800000, v4
	v_trunc_f32_e32 v5, v5
	v_mac_f32_e32 v4, 0xcf800000, v5
	v_cvt_u32_f32_e32 v5, v5
	v_cvt_u32_f32_e32 v4, v4
	v_mul_lo_u32 v7, s0, v5
	v_mul_hi_u32 v12, s0, v4
	v_mul_lo_u32 v14, s1, v4
	v_mul_lo_u32 v13, s0, v4
	v_add_u32_e32 v7, v12, v7
	v_add_u32_e32 v7, v7, v14
	v_mul_hi_u32 v12, v4, v13
	v_mul_lo_u32 v14, v4, v7
	v_mul_hi_u32 v16, v4, v7
	v_mul_hi_u32 v15, v5, v13
	v_mul_lo_u32 v13, v5, v13
	v_mul_hi_u32 v17, v5, v7
	v_add_co_u32_e32 v12, vcc, v12, v14
	v_addc_co_u32_e32 v14, vcc, 0, v16, vcc
	v_mul_lo_u32 v7, v5, v7
	v_add_co_u32_e32 v12, vcc, v12, v13
	v_addc_co_u32_e32 v12, vcc, v14, v15, vcc
	v_addc_co_u32_e32 v13, vcc, 0, v17, vcc
	v_add_co_u32_e32 v7, vcc, v12, v7
	v_addc_co_u32_e32 v12, vcc, 0, v13, vcc
	v_add_co_u32_e32 v4, vcc, v4, v7
	v_addc_co_u32_e32 v5, vcc, v5, v12, vcc
	v_mul_lo_u32 v7, s0, v5
	v_mul_hi_u32 v12, s0, v4
	v_mul_lo_u32 v13, s1, v4
	v_mul_lo_u32 v14, s0, v4
	v_add_u32_e32 v7, v12, v7
	v_add_u32_e32 v7, v7, v13
	v_mul_lo_u32 v15, v4, v7
	v_mul_hi_u32 v16, v4, v14
	v_mul_hi_u32 v17, v4, v7
	;; [unrolled: 1-line block ×3, first 2 shown]
	v_mul_lo_u32 v14, v5, v14
	v_mul_hi_u32 v12, v5, v7
	v_add_co_u32_e32 v15, vcc, v16, v15
	v_addc_co_u32_e32 v16, vcc, 0, v17, vcc
	v_mul_lo_u32 v7, v5, v7
	v_add_co_u32_e32 v14, vcc, v15, v14
	v_addc_co_u32_e32 v13, vcc, v16, v13, vcc
	v_addc_co_u32_e32 v12, vcc, 0, v12, vcc
	v_add_co_u32_e32 v7, vcc, v13, v7
	v_addc_co_u32_e32 v12, vcc, 0, v12, vcc
	v_add_co_u32_e32 v7, vcc, v4, v7
	v_addc_co_u32_e32 v12, vcc, v5, v12, vcc
	v_mad_u64_u32 v[4:5], s[0:1], v10, v12, 0
	v_mul_hi_u32 v13, v10, v7
	v_add_co_u32_e32 v14, vcc, v13, v4
	v_addc_co_u32_e32 v15, vcc, 0, v5, vcc
	v_mad_u64_u32 v[4:5], s[0:1], v11, v7, 0
	v_mad_u64_u32 v[12:13], s[0:1], v11, v12, 0
	v_add_co_u32_e32 v4, vcc, v14, v4
	v_addc_co_u32_e32 v4, vcc, v15, v5, vcc
	v_addc_co_u32_e32 v5, vcc, 0, v13, vcc
	v_add_co_u32_e32 v7, vcc, v4, v12
	v_addc_co_u32_e32 v12, vcc, 0, v5, vcc
	v_mul_lo_u32 v13, s25, v7
	v_mul_lo_u32 v14, s24, v12
	v_mad_u64_u32 v[4:5], s[0:1], s24, v7, 0
	v_add3_u32 v5, v5, v14, v13
	v_sub_u32_e32 v13, v11, v5
	v_mov_b32_e32 v14, s25
	v_sub_co_u32_e32 v4, vcc, v10, v4
	v_subb_co_u32_e64 v13, s[0:1], v13, v14, vcc
	v_subrev_co_u32_e64 v14, s[0:1], s24, v4
	v_subbrev_co_u32_e64 v13, s[0:1], 0, v13, s[0:1]
	v_cmp_le_u32_e64 s[0:1], s25, v13
	v_cndmask_b32_e64 v15, 0, -1, s[0:1]
	v_cmp_le_u32_e64 s[0:1], s24, v14
	v_cndmask_b32_e64 v14, 0, -1, s[0:1]
	v_cmp_eq_u32_e64 s[0:1], s25, v13
	v_cndmask_b32_e64 v13, v15, v14, s[0:1]
	v_add_co_u32_e64 v14, s[0:1], 2, v7
	v_addc_co_u32_e64 v15, s[0:1], 0, v12, s[0:1]
	v_add_co_u32_e64 v16, s[0:1], 1, v7
	v_addc_co_u32_e64 v17, s[0:1], 0, v12, s[0:1]
	v_subb_co_u32_e32 v5, vcc, v11, v5, vcc
	v_cmp_ne_u32_e64 s[0:1], 0, v13
	v_cmp_le_u32_e32 vcc, s25, v5
	v_cndmask_b32_e64 v13, v17, v15, s[0:1]
	v_cndmask_b32_e64 v15, 0, -1, vcc
	v_cmp_le_u32_e32 vcc, s24, v4
	v_cndmask_b32_e64 v4, 0, -1, vcc
	v_cmp_eq_u32_e32 vcc, s25, v5
	v_cndmask_b32_e32 v4, v15, v4, vcc
	v_cmp_ne_u32_e32 vcc, 0, v4
	v_cndmask_b32_e64 v4, v16, v14, s[0:1]
	v_cndmask_b32_e32 v5, v12, v13, vcc
	v_cndmask_b32_e32 v4, v7, v4, vcc
.LBB0_4:                                ;   in Loop: Header=BB0_2 Depth=1
	s_andn2_saveexec_b64 s[0:1], s[26:27]
	s_cbranch_execz .LBB0_6
; %bb.5:                                ;   in Loop: Header=BB0_2 Depth=1
	v_cvt_f32_u32_e32 v4, s24
	s_sub_i32 s26, 0, s24
	v_rcp_iflag_f32_e32 v4, v4
	v_mul_f32_e32 v4, 0x4f7ffffe, v4
	v_cvt_u32_f32_e32 v4, v4
	v_mul_lo_u32 v5, s26, v4
	v_mul_hi_u32 v5, v4, v5
	v_add_u32_e32 v4, v4, v5
	v_mul_hi_u32 v4, v10, v4
	v_mul_lo_u32 v5, v4, s24
	v_add_u32_e32 v7, 1, v4
	v_sub_u32_e32 v5, v10, v5
	v_subrev_u32_e32 v12, s24, v5
	v_cmp_le_u32_e32 vcc, s24, v5
	v_cndmask_b32_e32 v5, v5, v12, vcc
	v_cndmask_b32_e32 v4, v4, v7, vcc
	v_add_u32_e32 v7, 1, v4
	v_cmp_le_u32_e32 vcc, s24, v5
	v_cndmask_b32_e32 v4, v4, v7, vcc
	v_mov_b32_e32 v5, v3
.LBB0_6:                                ;   in Loop: Header=BB0_2 Depth=1
	s_or_b64 exec, exec, s[0:1]
	v_mul_lo_u32 v7, v5, s24
	v_mul_lo_u32 v14, v4, s25
	v_mad_u64_u32 v[12:13], s[0:1], v4, s24, 0
	s_load_dwordx2 s[0:1], s[6:7], 0x0
	s_load_dwordx2 s[24:25], s[2:3], 0x0
	v_add3_u32 v7, v13, v14, v7
	v_sub_co_u32_e32 v10, vcc, v10, v12
	v_subb_co_u32_e32 v7, vcc, v11, v7, vcc
	s_waitcnt lgkmcnt(0)
	v_mul_lo_u32 v11, s0, v7
	v_mul_lo_u32 v12, s1, v10
	v_mad_u64_u32 v[8:9], s[0:1], s0, v10, v[8:9]
	s_add_u32 s22, s22, 1
	s_addc_u32 s23, s23, 0
	s_add_u32 s2, s2, 8
	v_mul_lo_u32 v7, s24, v7
	v_mul_lo_u32 v13, s25, v10
	v_mad_u64_u32 v[1:2], s[0:1], s24, v10, v[1:2]
	v_add3_u32 v9, v12, v9, v11
	s_addc_u32 s3, s3, 0
	v_mov_b32_e32 v10, s14
	s_add_u32 s6, s6, 8
	v_mov_b32_e32 v11, s15
	s_addc_u32 s7, s7, 0
	v_cmp_ge_u64_e32 vcc, s[22:23], v[10:11]
	s_add_u32 s20, s20, 8
	v_add3_u32 v2, v13, v2, v7
	s_addc_u32 s21, s21, 0
	s_cbranch_vccnz .LBB0_8
; %bb.7:                                ;   in Loop: Header=BB0_2 Depth=1
	v_mov_b32_e32 v11, v5
	v_mov_b32_e32 v10, v4
	s_branch .LBB0_2
.LBB0_8:
	s_load_dwordx2 s[0:1], s[4:5], 0x28
	s_lshl_b64 s[6:7], s[14:15], 3
	s_add_u32 s2, s18, s6
	s_addc_u32 s3, s19, s7
                                        ; implicit-def: $sgpr14_sgpr15
                                        ; implicit-def: $vgpr3
	s_waitcnt lgkmcnt(0)
	v_cmp_gt_u64_e32 vcc, s[0:1], v[4:5]
	v_cmp_le_u64_e64 s[0:1], s[0:1], v[4:5]
	s_and_saveexec_b64 s[4:5], s[0:1]
	s_xor_b64 s[0:1], exec, s[4:5]
; %bb.9:
	s_mov_b32 s4, 0x7c1f07d
	v_mul_hi_u32 v3, v0, s4
	s_mov_b64 s[14:15], 0
                                        ; implicit-def: $vgpr8_vgpr9
	v_mul_u32_u24_e32 v3, 33, v3
	v_sub_u32_e32 v3, v0, v3
                                        ; implicit-def: $vgpr0
; %bb.10:
	s_or_saveexec_b64 s[4:5], s[0:1]
	v_mov_b32_e32 v16, s15
	v_mov_b32_e32 v22, s15
	;; [unrolled: 1-line block ×8, first 2 shown]
                                        ; implicit-def: $vgpr10
                                        ; implicit-def: $vgpr12
                                        ; implicit-def: $vgpr26
                                        ; implicit-def: $vgpr24
                                        ; implicit-def: $vgpr18
	s_xor_b64 exec, exec, s[4:5]
	s_cbranch_execz .LBB0_12
; %bb.11:
	s_add_u32 s0, s16, s6
	s_addc_u32 s1, s17, s7
	s_load_dwordx2 s[0:1], s[0:1], 0x0
	s_mov_b32 s6, 0x7c1f07d
	v_mul_hi_u32 v3, v0, s6
	s_waitcnt lgkmcnt(0)
	v_mul_lo_u32 v7, s1, v4
	v_mul_lo_u32 v12, s0, v5
	v_mad_u64_u32 v[10:11], s[0:1], s0, v4, 0
	v_mul_u32_u24_e32 v3, 33, v3
	v_sub_u32_e32 v3, v0, v3
	v_add3_u32 v11, v11, v12, v7
	v_lshlrev_b64 v[10:11], 3, v[10:11]
	v_mov_b32_e32 v0, s9
	v_add_co_u32_e64 v10, s[0:1], s8, v10
	v_lshlrev_b64 v[7:8], 3, v[8:9]
	v_addc_co_u32_e64 v0, s[0:1], v0, v11, s[0:1]
	v_add_co_u32_e64 v7, s[0:1], v10, v7
	v_addc_co_u32_e64 v0, s[0:1], v0, v8, s[0:1]
	v_lshlrev_b32_e32 v8, 3, v3
	v_add_co_u32_e64 v7, s[0:1], v7, v8
	v_addc_co_u32_e64 v8, s[0:1], 0, v0, s[0:1]
	global_load_dwordx2 v[9:10], v[7:8], off
	global_load_dwordx2 v[15:16], v[7:8], off offset:264
	global_load_dwordx2 v[21:22], v[7:8], off offset:528
	;; [unrolled: 1-line block ×8, first 2 shown]
.LBB0_12:
	s_or_b64 exec, exec, s[4:5]
	s_mov_b32 s0, 0x24924925
	v_mul_hi_u32 v0, v6, s0
	s_waitcnt vmcnt(0)
	v_add_f32_e32 v7, v25, v15
	v_add_f32_e32 v29, v26, v16
	v_sub_f32_e32 v15, v15, v25
	v_sub_u32_e32 v8, v6, v0
	v_lshrrev_b32_e32 v8, 1, v8
	v_add_u32_e32 v0, v8, v0
	v_lshrrev_b32_e32 v0, 2, v0
	v_mul_lo_u32 v0, v0, 7
	v_add_f32_e32 v25, v24, v22
	v_sub_f32_e32 v8, v16, v26
	v_add_f32_e32 v16, v23, v21
	v_add_f32_e32 v30, v18, v20
	v_sub_f32_e32 v18, v20, v18
	v_add_f32_e32 v20, v29, v25
	v_sub_u32_e32 v0, v6, v0
	v_sub_f32_e32 v6, v21, v23
	v_sub_f32_e32 v21, v22, v24
	v_add_f32_e32 v22, v17, v19
	v_sub_f32_e32 v17, v19, v17
	v_add_f32_e32 v19, v7, v16
	v_add_f32_e32 v24, v20, v30
	v_add_f32_e32 v23, v19, v22
	v_add_f32_e32 v24, v24, v14
	v_add_f32_e32 v23, v23, v13
	v_sub_f32_e32 v26, v14, v12
	v_add_f32_e32 v14, v12, v14
	v_add_f32_e32 v12, v12, v24
	v_mov_b32_e32 v24, v9
	v_sub_f32_e32 v31, v13, v11
	v_add_f32_e32 v13, v11, v13
	v_add_f32_e32 v11, v11, v23
	v_mul_f32_e32 v23, 0x3f7c1c5c, v21
	v_fmac_f32_e32 v24, 0x3f441b7d, v7
	v_mul_u32_u24_e32 v0, 0x129, v0
	v_fmac_f32_e32 v23, 0x3f248dbb, v8
	v_fmac_f32_e32 v24, 0x3e31d0d4, v16
	;; [unrolled: 1-line block ×3, first 2 shown]
	v_fmac_f32_e32 v24, -0.5, v22
	v_lshlrev_b32_e32 v0, 2, v0
	v_fmac_f32_e32 v23, 0x3eaf1d44, v26
	v_fmac_f32_e32 v24, 0xbf708fb2, v13
	v_add_u32_e32 v27, 0, v0
	v_add_f32_e32 v24, v24, v23
	v_add_f32_e32 v11, v9, v11
	v_mad_u32_u24 v34, v3, 36, v27
	ds_write2_b32 v34, v11, v24 offset1:1
	v_fma_f32 v11, -2.0, v23, v24
	v_add_f32_e32 v19, v19, v13
	v_add_f32_e32 v23, v9, v22
	v_mov_b32_e32 v24, v9
	v_fmac_f32_e32 v23, -0.5, v19
	v_mul_f32_e32 v19, 0xbf248dbb, v26
	v_fmac_f32_e32 v24, 0x3f441b7d, v13
	v_fmac_f32_e32 v19, 0x3f7c1c5c, v8
	;; [unrolled: 1-line block ×4, first 2 shown]
	v_fmac_f32_e32 v24, -0.5, v22
	v_add_f32_e32 v28, v8, v26
	v_fmac_f32_e32 v19, 0x3eaf1d44, v21
	v_fmac_f32_e32 v24, 0xbf708fb2, v16
	v_sub_f32_e32 v28, v28, v21
	v_add_f32_e32 v24, v19, v24
	v_fmac_f32_e32 v23, 0x3f5db3d7, v28
	v_fma_f32 v19, -2.0, v19, v24
	ds_write2_b32 v34, v24, v23 offset0:2 offset1:3
	v_mul_f32_e32 v24, 0x3f5db3d7, v28
	v_fma_f32 v23, -2.0, v24, v23
	s_mov_b32 s0, 0xbf248dbb
	v_mul_f32_e32 v24, 0x3f7c1c5c, v26
	v_fma_f32 v21, v21, s0, -v24
	v_fmac_f32_e32 v21, 0x3f5db3d7, v18
	v_fmac_f32_e32 v21, 0x3eaf1d44, v8
	;; [unrolled: 1-line block ×3, first 2 shown]
	v_mov_b32_e32 v8, v10
	v_fmac_f32_e32 v9, 0x3e31d0d4, v13
	v_mul_f32_e32 v13, 0x3f7c1c5c, v6
	v_fmac_f32_e32 v8, 0x3f441b7d, v29
	v_fmac_f32_e32 v13, 0x3f248dbb, v15
	v_fmac_f32_e32 v9, -0.5, v22
	v_fmac_f32_e32 v8, 0x3e31d0d4, v25
	v_fmac_f32_e32 v13, 0x3f5db3d7, v17
	v_fmac_f32_e32 v8, -0.5, v30
	v_fmac_f32_e32 v9, 0xbf708fb2, v7
	v_fmac_f32_e32 v13, 0x3eaf1d44, v31
	;; [unrolled: 1-line block ×3, first 2 shown]
	v_add_f32_e32 v7, v9, v21
	v_sub_f32_e32 v18, v8, v13
	v_fma_f32 v8, -2.0, v21, v7
	s_load_dwordx2 s[4:5], s[2:3], 0x0
	ds_write2_b32 v34, v7, v8 offset0:4 offset1:5
	ds_write2_b32 v34, v23, v19 offset0:6 offset1:7
	ds_write_b32 v34, v11 offset:32
	v_lshlrev_b32_e32 v8, 5, v3
	v_add_f32_e32 v12, v10, v12
	v_lshl_add_u32 v26, v3, 2, v27
	v_sub_u32_e32 v11, v34, v8
	s_waitcnt lgkmcnt(0)
	s_barrier
	ds_read_b32 v7, v26
	ds_read2_b32 v[23:24], v11 offset0:99 offset1:132
	v_add_u32_e32 v16, 0x200, v11
	ds_read2_b32 v[27:28], v11 offset0:165 offset1:198
	ds_read2_b32 v[8:9], v11 offset0:33 offset1:66
	;; [unrolled: 1-line block ×3, first 2 shown]
	s_waitcnt lgkmcnt(0)
	s_barrier
	ds_write2_b32 v34, v12, v18 offset1:1
	v_fma_f32 v12, 2.0, v13, v18
	v_add_f32_e32 v13, v20, v14
	v_add_f32_e32 v18, v10, v30
	v_fmac_f32_e32 v18, -0.5, v13
	v_mul_f32_e32 v13, 0xbf248dbb, v31
	v_fmac_f32_e32 v13, 0x3f7c1c5c, v15
	v_fmac_f32_e32 v13, 0xbf5db3d7, v17
	v_add_f32_e32 v19, v15, v31
	v_mul_f32_e32 v20, 0x3f7c1c5c, v31
	v_fmac_f32_e32 v13, 0x3eaf1d44, v6
	v_sub_f32_e32 v19, v19, v6
	v_fma_f32 v6, v6, s0, -v20
	v_fmac_f32_e32 v6, 0x3f5db3d7, v17
	v_fmac_f32_e32 v6, 0x3eaf1d44, v15
	v_mov_b32_e32 v15, v10
	v_fmac_f32_e32 v10, 0x3f441b7d, v25
	v_fmac_f32_e32 v15, 0x3f441b7d, v14
	;; [unrolled: 1-line block ×4, first 2 shown]
	v_fmac_f32_e32 v10, -0.5, v30
	v_fmac_f32_e32 v15, -0.5, v30
	v_fmac_f32_e32 v10, 0xbf708fb2, v29
	v_fmac_f32_e32 v15, 0xbf708fb2, v25
	v_sub_f32_e32 v10, v10, v6
	v_sub_f32_e32 v14, v15, v13
	v_fmac_f32_e32 v18, 0xbf5db3d7, v19
	v_mul_f32_e32 v15, 0x3f5db3d7, v19
	v_fma_f32 v6, 2.0, v6, v10
	v_fma_f32 v13, 2.0, v13, v14
	;; [unrolled: 1-line block ×3, first 2 shown]
	ds_write2_b32 v34, v14, v18 offset0:2 offset1:3
	ds_write2_b32 v34, v10, v6 offset0:4 offset1:5
	ds_write2_b32 v34, v15, v13 offset0:6 offset1:7
	ds_write_b32 v34, v12 offset:32
	v_mov_b32_e32 v6, 57
	v_mul_lo_u16_sdwa v10, v3, v6 dst_sel:DWORD dst_unused:UNUSED_PAD src0_sel:BYTE_0 src1_sel:DWORD
	v_lshrrev_b16_e32 v21, 9, v10
	v_mul_lo_u16_e32 v10, 9, v21
	v_sub_u16_e32 v41, v3, v10
	v_mov_b32_e32 v10, 4
	v_lshlrev_b32_sdwa v12, v10, v41 dst_sel:DWORD dst_unused:UNUSED_PAD src0_sel:DWORD src1_sel:BYTE_0
	v_add_u16_e32 v17, 33, v3
	s_waitcnt lgkmcnt(0)
	s_barrier
	global_load_dwordx4 v[12:15], v12, s[12:13]
	v_mul_lo_u16_sdwa v18, v17, v6 dst_sel:DWORD dst_unused:UNUSED_PAD src0_sel:BYTE_0 src1_sel:DWORD
	v_lshrrev_b16_e32 v42, 9, v18
	v_mul_lo_u16_e32 v18, 9, v42
	v_add_u16_e32 v22, 0x42, v3
	v_sub_u16_e32 v43, v17, v18
	v_mul_lo_u16_sdwa v6, v22, v6 dst_sel:DWORD dst_unused:UNUSED_PAD src0_sel:BYTE_0 src1_sel:DWORD
	v_lshlrev_b32_sdwa v17, v10, v43 dst_sel:DWORD dst_unused:UNUSED_PAD src0_sel:DWORD src1_sel:BYTE_0
	v_lshrrev_b16_e32 v6, 9, v6
	global_load_dwordx4 v[17:20], v17, s[12:13]
	v_mul_lo_u16_e32 v25, 9, v6
	v_sub_u16_e32 v44, v22, v25
	v_lshlrev_b32_sdwa v10, v10, v44 dst_sel:DWORD dst_unused:UNUSED_PAD src0_sel:DWORD src1_sel:BYTE_0
	global_load_dwordx4 v[35:38], v10, s[12:13]
	ds_read2_b32 v[30:31], v11 offset0:99 offset1:132
	ds_read2_b32 v[39:40], v11 offset0:165 offset1:198
	s_movk_i32 s0, 0x6c
	v_mad_u32_u24 v6, v6, s0, 0
	s_waitcnt vmcnt(2) lgkmcnt(1)
	v_mul_f32_e32 v10, v30, v13
	v_mul_f32_e32 v25, v23, v13
	v_fma_f32 v22, v23, v12, -v10
	v_fmac_f32_e32 v25, v30, v12
	ds_read2_b32 v[12:13], v16 offset0:103 offset1:136
	s_waitcnt lgkmcnt(1)
	v_mul_f32_e32 v10, v40, v15
	v_fma_f32 v30, v28, v14, -v10
	v_mul_f32_e32 v34, v28, v15
	v_fmac_f32_e32 v34, v40, v14
	s_waitcnt vmcnt(1)
	v_mul_f32_e32 v10, v31, v18
	v_fma_f32 v23, v24, v17, -v10
	v_mul_f32_e32 v24, v24, v18
	s_waitcnt lgkmcnt(0)
	v_mul_f32_e32 v10, v12, v20
	v_fmac_f32_e32 v24, v31, v17
	v_fma_f32 v31, v32, v19, -v10
	v_mul_f32_e32 v32, v32, v20
	v_fmac_f32_e32 v32, v12, v19
	s_waitcnt vmcnt(0)
	v_mul_f32_e32 v12, v13, v38
	v_fma_f32 v29, v33, v37, -v12
	v_mul_f32_e32 v33, v33, v38
	v_mul_f32_e32 v10, v39, v36
	v_fmac_f32_e32 v33, v13, v37
	v_mov_b32_e32 v13, 2
	v_fma_f32 v10, v27, v35, -v10
	v_mul_f32_e32 v27, v27, v36
	v_mad_u32_u24 v12, v21, s0, 0
	v_lshlrev_b32_sdwa v14, v13, v41 dst_sel:DWORD dst_unused:UNUSED_PAD src0_sel:DWORD src1_sel:BYTE_0
	v_fmac_f32_e32 v27, v39, v35
	v_add3_u32 v35, v12, v14, v0
	v_mad_u32_u24 v12, v42, s0, 0
	v_lshlrev_b32_sdwa v14, v13, v43 dst_sel:DWORD dst_unused:UNUSED_PAD src0_sel:DWORD src1_sel:BYTE_0
	v_add3_u32 v36, v12, v14, v0
	v_lshlrev_b32_sdwa v12, v13, v44 dst_sel:DWORD dst_unused:UNUSED_PAD src0_sel:DWORD src1_sel:BYTE_0
	v_add3_u32 v37, v6, v12, v0
	v_add_f32_e32 v6, v22, v30
	v_add_f32_e32 v0, v7, v22
	v_fmac_f32_e32 v7, -0.5, v6
	v_add_f32_e32 v13, v23, v31
	v_mov_b32_e32 v6, v7
	v_sub_f32_e32 v12, v25, v34
	v_fma_f32 v14, -0.5, v13, v8
	v_fmac_f32_e32 v6, 0x3f5db3d7, v12
	v_fmac_f32_e32 v7, 0xbf5db3d7, v12
	v_add_f32_e32 v12, v8, v23
	v_mov_b32_e32 v13, v14
	v_sub_f32_e32 v8, v24, v32
	v_fmac_f32_e32 v13, 0x3f5db3d7, v8
	v_fmac_f32_e32 v14, 0xbf5db3d7, v8
	v_add_f32_e32 v8, v9, v10
	v_add_f32_e32 v15, v8, v29
	;; [unrolled: 1-line block ×3, first 2 shown]
	v_fmac_f32_e32 v9, -0.5, v8
	v_mov_b32_e32 v8, v9
	v_sub_f32_e32 v17, v27, v33
	v_fmac_f32_e32 v8, 0x3f5db3d7, v17
	v_fmac_f32_e32 v9, 0xbf5db3d7, v17
	ds_read_b32 v17, v26
	ds_read2_b32 v[18:19], v11 offset0:33 offset1:66
	v_add_f32_e32 v12, v12, v31
	v_add_f32_e32 v0, v0, v30
	v_cmp_gt_u32_e64 s[0:1], 27, v3
	s_waitcnt lgkmcnt(0)
	s_barrier
	ds_write2_b32 v35, v0, v6 offset1:9
	ds_write_b32 v35, v7 offset:72
	ds_write2_b32 v36, v12, v13 offset1:9
	ds_write_b32 v36, v14 offset:72
	;; [unrolled: 2-line block ×3, first 2 shown]
	s_waitcnt lgkmcnt(0)
	s_barrier
	s_waitcnt lgkmcnt(0)
                                        ; implicit-def: $vgpr21
	s_and_saveexec_b64 s[2:3], s[0:1]
	s_cbranch_execz .LBB0_14
; %bb.13:
	ds_read_b32 v0, v26
	ds_read2_b32 v[6:7], v11 offset0:27 offset1:54
	ds_read2_b32 v[12:13], v11 offset0:81 offset1:108
	;; [unrolled: 1-line block ×5, first 2 shown]
.LBB0_14:
	s_or_b64 exec, exec, s[2:3]
	v_add_f32_e32 v16, v17, v25
	v_add_f32_e32 v28, v16, v34
	;; [unrolled: 1-line block ×3, first 2 shown]
	v_fmac_f32_e32 v17, -0.5, v16
	v_sub_f32_e32 v22, v22, v30
	v_mov_b32_e32 v16, v17
	v_fmac_f32_e32 v16, 0xbf5db3d7, v22
	v_fmac_f32_e32 v17, 0x3f5db3d7, v22
	v_add_f32_e32 v22, v18, v24
	v_add_f32_e32 v24, v24, v32
	v_fma_f32 v24, -0.5, v24, v18
	v_sub_f32_e32 v18, v23, v31
	v_mov_b32_e32 v23, v24
	v_fmac_f32_e32 v23, 0xbf5db3d7, v18
	v_fmac_f32_e32 v24, 0x3f5db3d7, v18
	v_add_f32_e32 v18, v19, v27
	v_add_f32_e32 v25, v18, v33
	;; [unrolled: 1-line block ×3, first 2 shown]
	v_fmac_f32_e32 v19, -0.5, v18
	v_sub_f32_e32 v10, v10, v29
	v_mov_b32_e32 v18, v19
	v_add_f32_e32 v22, v22, v32
	v_fmac_f32_e32 v18, 0xbf5db3d7, v10
	v_fmac_f32_e32 v19, 0x3f5db3d7, v10
	s_waitcnt lgkmcnt(0)
	s_barrier
	ds_write2_b32 v35, v28, v16 offset1:9
	ds_write_b32 v35, v17 offset:72
	ds_write2_b32 v36, v22, v23 offset1:9
	ds_write_b32 v36, v24 offset:72
	;; [unrolled: 2-line block ×3, first 2 shown]
	s_waitcnt lgkmcnt(0)
	s_barrier
	s_waitcnt lgkmcnt(0)
                                        ; implicit-def: $vgpr27
	s_and_saveexec_b64 s[2:3], s[0:1]
	s_cbranch_execz .LBB0_16
; %bb.15:
	ds_read_b32 v28, v26
	ds_read2_b32 v[16:17], v11 offset0:27 offset1:54
	ds_read2_b32 v[22:23], v11 offset0:81 offset1:108
	;; [unrolled: 1-line block ×4, first 2 shown]
	v_add_u32_e32 v10, 0x200, v11
	ds_read2_b32 v[26:27], v10 offset0:115 offset1:142
.LBB0_16:
	s_or_b64 exec, exec, s[2:3]
	v_cmp_gt_u32_e64 s[2:3], 27, v3
	s_and_b64 s[2:3], vcc, s[2:3]
	s_and_saveexec_b64 s[6:7], s[2:3]
	s_cbranch_execz .LBB0_18
; %bb.17:
	v_subrev_u32_e32 v10, 27, v3
	v_cndmask_b32_e64 v10, v10, v3, s[0:1]
	v_mul_i32_i24_e32 v10, 10, v10
	v_mov_b32_e32 v11, 0
	v_lshlrev_b64 v[29:30], 3, v[10:11]
	v_mov_b32_e32 v10, s13
	v_add_co_u32_e32 v49, vcc, s12, v29
	v_addc_co_u32_e32 v50, vcc, v10, v30, vcc
	global_load_dwordx4 v[29:32], v[49:50], off offset:208
	global_load_dwordx4 v[33:36], v[49:50], off offset:144
	;; [unrolled: 1-line block ×5, first 2 shown]
	v_mul_lo_u32 v10, s5, v4
	v_mul_lo_u32 v5, s4, v5
	v_mad_u64_u32 v[49:50], s[0:1], s4, v4, 0
	s_mov_b32 s0, 0xbf75a155
	s_mov_b32 s1, 0x3f575c64
	v_add3_u32 v50, v50, v5, v10
	s_mov_b32 s2, 0xbf27a4f4
	s_mov_b32 s3, 0x3ed4b147
	;; [unrolled: 1-line block ×3, first 2 shown]
	s_waitcnt vmcnt(4) lgkmcnt(0)
	v_mul_f32_e32 v4, v27, v32
	v_mul_f32_e32 v32, v21, v32
	s_waitcnt vmcnt(3)
	v_mul_f32_e32 v10, v16, v34
	v_mul_f32_e32 v34, v6, v34
	;; [unrolled: 1-line block ×6, first 2 shown]
	s_waitcnt vmcnt(1)
	v_mul_f32_e32 v54, v22, v42
	v_mul_f32_e32 v42, v12, v42
	s_waitcnt vmcnt(0)
	v_mul_f32_e32 v56, v24, v46
	v_mul_f32_e32 v46, v14, v46
	v_fma_f32 v4, v21, v31, -v4
	v_fmac_f32_e32 v32, v27, v31
	v_fma_f32 v21, v6, v33, -v10
	v_fmac_f32_e32 v34, v16, v33
	v_mul_f32_e32 v52, v19, v40
	v_mul_f32_e32 v53, v18, v38
	;; [unrolled: 1-line block ×8, first 2 shown]
	v_fma_f32 v20, v20, v29, -v5
	v_fmac_f32_e32 v30, v26, v29
	v_fma_f32 v26, v7, v35, -v51
	v_fmac_f32_e32 v36, v17, v35
	v_fmac_f32_e32 v42, v22, v41
	v_fma_f32 v22, v14, v45, -v56
	v_fmac_f32_e32 v46, v24, v45
	v_sub_f32_e32 v14, v34, v32
	v_sub_f32_e32 v24, v21, v4
	v_fma_f32 v16, v9, v39, -v52
	v_fmac_f32_e32 v40, v19, v39
	v_fmac_f32_e32 v38, v18, v37
	v_fma_f32 v18, v12, v41, -v54
	v_fma_f32 v19, v13, v43, -v55
	v_fmac_f32_e32 v44, v23, v43
	v_fma_f32 v23, v15, v47, -v57
	v_fmac_f32_e32 v48, v25, v47
	v_add_f32_e32 v27, v21, v4
	v_sub_f32_e32 v15, v36, v30
	v_sub_f32_e32 v25, v26, v20
	v_mul_f32_e32 v43, 0xbe903f40, v14
	v_mul_f32_e32 v47, 0xbe903f40, v24
	v_fma_f32 v17, v8, v37, -v53
	v_add_f32_e32 v29, v26, v20
	v_add_f32_e32 v31, v34, v32
	v_sub_f32_e32 v35, v18, v16
	v_mul_f32_e32 v45, 0x3f0a6770, v15
	v_mul_f32_e32 v51, 0x3f0a6770, v25
	v_fma_f32 v5, v27, s0, -v43
	v_mov_b32_e32 v7, v47
	v_sub_f32_e32 v55, v42, v40
	v_add_f32_e32 v33, v36, v30
	v_sub_f32_e32 v39, v19, v17
	v_mul_f32_e32 v52, 0xbf4178ce, v35
	v_fma_f32 v6, v29, s1, -v45
	v_mov_b32_e32 v8, v51
	v_add_f32_e32 v5, v0, v5
	v_fmac_f32_e32 v7, 0xbf75a155, v31
	v_add_f32_e32 v54, v18, v16
	v_mul_f32_e32 v56, 0xbf4178ce, v55
	v_sub_f32_e32 v58, v44, v38
	v_add_f32_e32 v37, v42, v40
	v_mul_f32_e32 v53, 0x3f68dda4, v39
	v_mov_b32_e32 v9, v52
	v_fmac_f32_e32 v8, 0x3f575c64, v33
	v_add_f32_e32 v5, v5, v6
	v_add_f32_e32 v6, v28, v7
	v_fma_f32 v7, v54, s2, -v56
	v_add_f32_e32 v57, v19, v17
	v_mul_f32_e32 v59, 0x3f68dda4, v58
	v_sub_f32_e32 v60, v22, v23
	v_add_f32_e32 v41, v44, v38
	v_mov_b32_e32 v10, v53
	v_fmac_f32_e32 v9, 0xbf27a4f4, v37
	v_add_f32_e32 v6, v6, v8
	v_add_f32_e32 v5, v5, v7
	v_fma_f32 v7, v57, s3, -v59
	v_mul_f32_e32 v61, 0xbf7d64f0, v60
	v_fmac_f32_e32 v10, 0x3ed4b147, v41
	v_add_f32_e32 v6, v6, v9
	v_add_f32_e32 v5, v5, v7
	;; [unrolled: 1-line block ×3, first 2 shown]
	v_mov_b32_e32 v7, v61
	v_sub_f32_e32 v64, v46, v48
	v_add_f32_e32 v6, v6, v10
	v_fmac_f32_e32 v7, 0xbe11bafb, v62
	v_add_f32_e32 v63, v22, v23
	v_mul_f32_e32 v65, 0xbf7d64f0, v64
	v_add_f32_e32 v6, v6, v7
	v_fma_f32 v7, v63, s4, -v65
	v_mul_f32_e32 v66, 0xbf4178ce, v24
	v_add_f32_e32 v5, v5, v7
	v_mov_b32_e32 v7, v66
	v_mul_f32_e32 v67, 0x3f7d64f0, v25
	v_fmac_f32_e32 v7, 0xbf27a4f4, v31
	v_mov_b32_e32 v8, v67
	v_add_f32_e32 v7, v28, v7
	v_fmac_f32_e32 v8, 0xbe11bafb, v33
	v_mul_f32_e32 v68, 0xbf0a6770, v35
	v_add_f32_e32 v7, v7, v8
	v_mov_b32_e32 v8, v68
	v_fmac_f32_e32 v8, 0x3f575c64, v37
	v_mul_f32_e32 v69, 0xbe903f40, v39
	v_add_f32_e32 v7, v7, v8
	v_mov_b32_e32 v8, v69
	v_fmac_f32_e32 v8, 0xbf75a155, v41
	v_mul_f32_e32 v70, 0xbf4178ce, v14
	v_add_f32_e32 v7, v7, v8
	v_fma_f32 v8, v27, s2, -v70
	v_mul_f32_e32 v71, 0x3f7d64f0, v15
	v_add_f32_e32 v8, v0, v8
	v_fma_f32 v9, v29, s4, -v71
	;; [unrolled: 3-line block ×4, first 2 shown]
	v_mul_f32_e32 v74, 0x3f68dda4, v60
	v_add_f32_e32 v9, v8, v9
	v_mov_b32_e32 v8, v74
	v_fmac_f32_e32 v8, 0x3ed4b147, v62
	v_mul_f32_e32 v75, 0x3f68dda4, v64
	v_add_f32_e32 v8, v7, v8
	v_fma_f32 v7, v63, s3, -v75
	v_mul_f32_e32 v76, 0xbf7d64f0, v24
	v_add_f32_e32 v7, v9, v7
	v_mov_b32_e32 v9, v76
	v_mul_f32_e32 v77, 0x3e903f40, v25
	v_fmac_f32_e32 v9, 0xbe11bafb, v31
	v_mov_b32_e32 v10, v77
	v_add_f32_e32 v9, v28, v9
	v_fmac_f32_e32 v10, 0xbf75a155, v33
	v_mul_f32_e32 v78, 0x3f68dda4, v35
	v_add_f32_e32 v9, v9, v10
	v_mov_b32_e32 v10, v78
	v_fmac_f32_e32 v10, 0x3ed4b147, v37
	v_mul_f32_e32 v79, 0xbf0a6770, v39
	v_add_f32_e32 v9, v9, v10
	v_mov_b32_e32 v10, v79
	v_fmac_f32_e32 v10, 0x3f575c64, v41
	v_mul_f32_e32 v80, 0xbf7d64f0, v14
	v_add_f32_e32 v9, v9, v10
	v_fma_f32 v10, v27, s4, -v80
	v_mul_f32_e32 v81, 0x3e903f40, v15
	v_add_f32_e32 v10, v0, v10
	v_fma_f32 v12, v29, s0, -v81
	;; [unrolled: 3-line block ×4, first 2 shown]
	v_mul_f32_e32 v84, 0xbf4178ce, v60
	v_add_f32_e32 v12, v10, v12
	v_mov_b32_e32 v10, v84
	v_fmac_f32_e32 v10, 0xbf27a4f4, v62
	v_mul_f32_e32 v85, 0xbf4178ce, v64
	v_add_f32_e32 v10, v9, v10
	v_fma_f32 v9, v63, s2, -v85
	v_mul_f32_e32 v86, 0xbf68dda4, v24
	v_add_f32_e32 v9, v12, v9
	v_mov_b32_e32 v12, v86
	v_mul_f32_e32 v87, 0xbf4178ce, v25
	v_fmac_f32_e32 v12, 0x3ed4b147, v31
	v_mov_b32_e32 v13, v87
	v_add_f32_e32 v12, v28, v12
	v_fmac_f32_e32 v13, 0xbf27a4f4, v33
	v_mul_f32_e32 v88, 0x3e903f40, v35
	v_add_f32_e32 v12, v12, v13
	v_mov_b32_e32 v13, v88
	v_fmac_f32_e32 v13, 0xbf75a155, v37
	v_mul_f32_e32 v89, 0x3f7d64f0, v39
	v_add_f32_e32 v12, v12, v13
	v_mov_b32_e32 v13, v89
	v_fmac_f32_e32 v13, 0xbe11bafb, v41
	v_mul_f32_e32 v90, 0xbf68dda4, v14
	v_add_f32_e32 v12, v12, v13
	v_fma_f32 v13, v27, s3, -v90
	v_mul_f32_e32 v91, 0xbf4178ce, v15
	v_add_f32_e32 v13, v0, v13
	v_fma_f32 v92, v29, s2, -v91
	v_add_f32_e32 v13, v13, v92
	v_mul_f32_e32 v92, 0x3e903f40, v55
	v_fma_f32 v93, v54, s0, -v92
	v_add_f32_e32 v21, v0, v21
	v_add_f32_e32 v13, v13, v93
	v_mul_f32_e32 v93, 0x3f7d64f0, v58
	v_add_f32_e32 v21, v21, v26
	v_fma_f32 v94, v57, s4, -v93
	v_mul_f32_e32 v95, 0x3f0a6770, v60
	v_add_f32_e32 v18, v21, v18
	v_add_f32_e32 v94, v13, v94
	v_mov_b32_e32 v13, v95
	v_add_f32_e32 v18, v18, v19
	v_fmac_f32_e32 v13, 0x3f575c64, v62
	v_mul_f32_e32 v96, 0x3f0a6770, v64
	v_add_f32_e32 v18, v18, v22
	v_add_f32_e32 v13, v12, v13
	v_fma_f32 v12, v63, s1, -v96
	v_add_f32_e32 v18, v18, v23
	v_add_f32_e32 v12, v94, v12
	v_mul_f32_e32 v94, 0xbf0a6770, v24
	v_add_f32_e32 v17, v17, v18
	v_mov_b32_e32 v24, v94
	v_mul_f32_e32 v97, 0xbf68dda4, v25
	v_add_f32_e32 v16, v16, v17
	v_fmac_f32_e32 v24, 0x3f575c64, v31
	v_mov_b32_e32 v25, v97
	v_mul_f32_e32 v98, 0xbf0a6770, v14
	v_add_f32_e32 v16, v20, v16
	v_add_f32_e32 v24, v28, v24
	v_fmac_f32_e32 v25, 0x3ed4b147, v33
	v_mul_f32_e32 v35, 0xbf7d64f0, v35
	v_fma_f32 v14, v27, s1, -v98
	v_mul_f32_e32 v99, 0xbf68dda4, v15
	v_add_f32_e32 v16, v4, v16
	v_fma_f32 v4, v31, s0, -v47
	v_add_f32_e32 v24, v24, v25
	v_mov_b32_e32 v25, v35
	v_add_f32_e32 v14, v0, v14
	v_fma_f32 v15, v29, s3, -v99
	v_mul_f32_e32 v55, 0xbf7d64f0, v55
	v_add_f32_e32 v4, v28, v4
	v_fma_f32 v18, v33, s1, -v51
	v_fmac_f32_e32 v25, 0xbe11bafb, v37
	v_mul_f32_e32 v39, 0xbf4178ce, v39
	v_add_f32_e32 v14, v14, v15
	v_fma_f32 v15, v54, s4, -v55
	v_mul_f32_e32 v58, 0xbf4178ce, v58
	v_add_f32_e32 v4, v4, v18
	v_fma_f32 v18, v37, s2, -v52
	v_add_f32_e32 v24, v24, v25
	v_mov_b32_e32 v25, v39
	v_add_f32_e32 v14, v14, v15
	v_fma_f32 v15, v57, s2, -v58
	v_mul_f32_e32 v60, 0xbe903f40, v60
	v_add_f32_e32 v4, v4, v18
	v_fma_f32 v18, v41, s3, -v53
	v_fmac_f32_e32 v25, 0xbf27a4f4, v41
	v_add_f32_e32 v14, v14, v15
	v_mov_b32_e32 v15, v60
	v_add_f32_e32 v4, v4, v18
	v_fma_f32 v19, v62, s4, -v61
	v_add_f32_e32 v24, v24, v25
	v_fmac_f32_e32 v15, 0xbf75a155, v62
	v_mul_f32_e32 v64, 0xbe903f40, v64
	v_add_f32_e32 v19, v4, v19
	v_fma_f32 v4, v31, s2, -v66
	v_add_f32_e32 v15, v24, v15
	v_fma_f32 v24, v63, s0, -v64
	;; [unrolled: 2-line block ×3, first 2 shown]
	v_add_f32_e32 v14, v14, v24
	v_add_f32_e32 v24, v28, v34
	;; [unrolled: 1-line block ×3, first 2 shown]
	v_fma_f32 v20, v37, s1, -v68
	v_add_f32_e32 v24, v24, v36
	v_add_f32_e32 v4, v4, v20
	v_fma_f32 v20, v41, s0, -v69
	v_add_f32_e32 v24, v24, v42
	v_add_f32_e32 v4, v4, v20
	;; [unrolled: 3-line block ×9, first 2 shown]
	v_fma_f32 v24, v33, s2, -v87
	v_add_f32_e32 v4, v4, v24
	v_fma_f32 v24, v37, s0, -v88
	v_add_f32_e32 v4, v4, v24
	;; [unrolled: 2-line block ×3, first 2 shown]
	v_fma_f32 v25, v62, s1, -v95
	v_fmac_f32_e32 v43, 0xbf75a155, v27
	v_fmac_f32_e32 v70, 0xbf27a4f4, v27
	;; [unrolled: 1-line block ×4, first 2 shown]
	v_add_f32_e32 v25, v4, v25
	v_fma_f32 v4, v31, s1, -v94
	v_fmac_f32_e32 v98, 0x3f575c64, v27
	v_add_f32_e32 v18, v0, v43
	v_add_f32_e32 v20, v0, v70
	;; [unrolled: 1-line block ×5, first 2 shown]
	v_fma_f32 v26, v33, s3, -v97
	v_add_f32_e32 v0, v0, v98
	v_fmac_f32_e32 v99, 0x3ed4b147, v29
	v_add_f32_e32 v4, v4, v26
	v_fma_f32 v26, v37, s4, -v35
	v_add_f32_e32 v0, v0, v99
	v_fmac_f32_e32 v55, 0xbe11bafb, v54
	v_fmac_f32_e32 v45, 0x3f575c64, v29
	;; [unrolled: 1-line block ×5, first 2 shown]
	v_add_f32_e32 v4, v4, v26
	v_fma_f32 v26, v41, s2, -v39
	v_add_f32_e32 v0, v0, v55
	v_fmac_f32_e32 v58, 0xbf27a4f4, v57
	v_lshlrev_b64 v[28:29], 3, v[49:50]
	v_add_f32_e32 v4, v4, v26
	v_fma_f32 v26, v62, s0, -v60
	v_add_f32_e32 v0, v0, v58
	v_fmac_f32_e32 v64, 0xbf75a155, v63
	v_add_f32_e32 v27, v4, v26
	v_add_f32_e32 v26, v0, v64
	v_mov_b32_e32 v4, v11
	v_mov_b32_e32 v0, s11
	v_add_co_u32_e32 v11, vcc, s10, v28
	v_addc_co_u32_e32 v28, vcc, v0, v29, vcc
	v_lshlrev_b64 v[0:1], 3, v[1:2]
	v_add_f32_e32 v18, v18, v45
	v_add_co_u32_e32 v2, vcc, v11, v0
	v_addc_co_u32_e32 v11, vcc, v28, v1, vcc
	v_lshlrev_b64 v[0:1], 3, v[3:4]
	v_fmac_f32_e32 v56, 0xbf27a4f4, v54
	v_add_f32_e32 v20, v20, v71
	v_fmac_f32_e32 v72, 0x3f575c64, v54
	v_add_f32_e32 v22, v22, v81
	;; [unrolled: 2-line block ×7, first 2 shown]
	v_fmac_f32_e32 v93, 0xbe11bafb, v57
	v_add_co_u32_e32 v0, vcc, v2, v0
	v_add_f32_e32 v18, v18, v59
	v_fmac_f32_e32 v65, 0xbe11bafb, v63
	v_add_f32_e32 v20, v20, v73
	v_fmac_f32_e32 v75, 0x3ed4b147, v63
	;; [unrolled: 2-line block ×4, first 2 shown]
	v_addc_co_u32_e32 v1, vcc, v11, v1, vcc
	v_add_f32_e32 v18, v18, v65
	v_add_f32_e32 v20, v20, v75
	;; [unrolled: 1-line block ×4, first 2 shown]
	global_store_dwordx2 v[0:1], v[16:17], off
	global_store_dwordx2 v[0:1], v[14:15], off offset:216
	global_store_dwordx2 v[0:1], v[12:13], off offset:432
	;; [unrolled: 1-line block ×10, first 2 shown]
.LBB0_18:
	s_endpgm
	.section	.rodata,"a",@progbits
	.p2align	6, 0x0
	.amdhsa_kernel fft_rtc_fwd_len297_factors_9_3_11_wgs_231_tpt_33_halfLds_sp_op_CI_CI_unitstride_sbrr_dirReg
		.amdhsa_group_segment_fixed_size 0
		.amdhsa_private_segment_fixed_size 0
		.amdhsa_kernarg_size 104
		.amdhsa_user_sgpr_count 6
		.amdhsa_user_sgpr_private_segment_buffer 1
		.amdhsa_user_sgpr_dispatch_ptr 0
		.amdhsa_user_sgpr_queue_ptr 0
		.amdhsa_user_sgpr_kernarg_segment_ptr 1
		.amdhsa_user_sgpr_dispatch_id 0
		.amdhsa_user_sgpr_flat_scratch_init 0
		.amdhsa_user_sgpr_private_segment_size 0
		.amdhsa_uses_dynamic_stack 0
		.amdhsa_system_sgpr_private_segment_wavefront_offset 0
		.amdhsa_system_sgpr_workgroup_id_x 1
		.amdhsa_system_sgpr_workgroup_id_y 0
		.amdhsa_system_sgpr_workgroup_id_z 0
		.amdhsa_system_sgpr_workgroup_info 0
		.amdhsa_system_vgpr_workitem_id 0
		.amdhsa_next_free_vgpr 100
		.amdhsa_next_free_sgpr 28
		.amdhsa_reserve_vcc 1
		.amdhsa_reserve_flat_scratch 0
		.amdhsa_float_round_mode_32 0
		.amdhsa_float_round_mode_16_64 0
		.amdhsa_float_denorm_mode_32 3
		.amdhsa_float_denorm_mode_16_64 3
		.amdhsa_dx10_clamp 1
		.amdhsa_ieee_mode 1
		.amdhsa_fp16_overflow 0
		.amdhsa_exception_fp_ieee_invalid_op 0
		.amdhsa_exception_fp_denorm_src 0
		.amdhsa_exception_fp_ieee_div_zero 0
		.amdhsa_exception_fp_ieee_overflow 0
		.amdhsa_exception_fp_ieee_underflow 0
		.amdhsa_exception_fp_ieee_inexact 0
		.amdhsa_exception_int_div_zero 0
	.end_amdhsa_kernel
	.text
.Lfunc_end0:
	.size	fft_rtc_fwd_len297_factors_9_3_11_wgs_231_tpt_33_halfLds_sp_op_CI_CI_unitstride_sbrr_dirReg, .Lfunc_end0-fft_rtc_fwd_len297_factors_9_3_11_wgs_231_tpt_33_halfLds_sp_op_CI_CI_unitstride_sbrr_dirReg
                                        ; -- End function
	.section	.AMDGPU.csdata,"",@progbits
; Kernel info:
; codeLenInByte = 5636
; NumSgprs: 32
; NumVgprs: 100
; ScratchSize: 0
; MemoryBound: 0
; FloatMode: 240
; IeeeMode: 1
; LDSByteSize: 0 bytes/workgroup (compile time only)
; SGPRBlocks: 3
; VGPRBlocks: 24
; NumSGPRsForWavesPerEU: 32
; NumVGPRsForWavesPerEU: 100
; Occupancy: 2
; WaveLimiterHint : 1
; COMPUTE_PGM_RSRC2:SCRATCH_EN: 0
; COMPUTE_PGM_RSRC2:USER_SGPR: 6
; COMPUTE_PGM_RSRC2:TRAP_HANDLER: 0
; COMPUTE_PGM_RSRC2:TGID_X_EN: 1
; COMPUTE_PGM_RSRC2:TGID_Y_EN: 0
; COMPUTE_PGM_RSRC2:TGID_Z_EN: 0
; COMPUTE_PGM_RSRC2:TIDIG_COMP_CNT: 0
	.type	__hip_cuid_ff9d35e4e00501bb,@object ; @__hip_cuid_ff9d35e4e00501bb
	.section	.bss,"aw",@nobits
	.globl	__hip_cuid_ff9d35e4e00501bb
__hip_cuid_ff9d35e4e00501bb:
	.byte	0                               ; 0x0
	.size	__hip_cuid_ff9d35e4e00501bb, 1

	.ident	"AMD clang version 19.0.0git (https://github.com/RadeonOpenCompute/llvm-project roc-6.4.0 25133 c7fe45cf4b819c5991fe208aaa96edf142730f1d)"
	.section	".note.GNU-stack","",@progbits
	.addrsig
	.addrsig_sym __hip_cuid_ff9d35e4e00501bb
	.amdgpu_metadata
---
amdhsa.kernels:
  - .args:
      - .actual_access:  read_only
        .address_space:  global
        .offset:         0
        .size:           8
        .value_kind:     global_buffer
      - .offset:         8
        .size:           8
        .value_kind:     by_value
      - .actual_access:  read_only
        .address_space:  global
        .offset:         16
        .size:           8
        .value_kind:     global_buffer
      - .actual_access:  read_only
        .address_space:  global
        .offset:         24
        .size:           8
        .value_kind:     global_buffer
      - .actual_access:  read_only
        .address_space:  global
        .offset:         32
        .size:           8
        .value_kind:     global_buffer
      - .offset:         40
        .size:           8
        .value_kind:     by_value
      - .actual_access:  read_only
        .address_space:  global
        .offset:         48
        .size:           8
        .value_kind:     global_buffer
      - .actual_access:  read_only
        .address_space:  global
        .offset:         56
        .size:           8
        .value_kind:     global_buffer
      - .offset:         64
        .size:           4
        .value_kind:     by_value
      - .actual_access:  read_only
        .address_space:  global
        .offset:         72
        .size:           8
        .value_kind:     global_buffer
      - .actual_access:  read_only
        .address_space:  global
        .offset:         80
        .size:           8
        .value_kind:     global_buffer
      - .actual_access:  read_only
        .address_space:  global
        .offset:         88
        .size:           8
        .value_kind:     global_buffer
      - .actual_access:  write_only
        .address_space:  global
        .offset:         96
        .size:           8
        .value_kind:     global_buffer
    .group_segment_fixed_size: 0
    .kernarg_segment_align: 8
    .kernarg_segment_size: 104
    .language:       OpenCL C
    .language_version:
      - 2
      - 0
    .max_flat_workgroup_size: 231
    .name:           fft_rtc_fwd_len297_factors_9_3_11_wgs_231_tpt_33_halfLds_sp_op_CI_CI_unitstride_sbrr_dirReg
    .private_segment_fixed_size: 0
    .sgpr_count:     32
    .sgpr_spill_count: 0
    .symbol:         fft_rtc_fwd_len297_factors_9_3_11_wgs_231_tpt_33_halfLds_sp_op_CI_CI_unitstride_sbrr_dirReg.kd
    .uniform_work_group_size: 1
    .uses_dynamic_stack: false
    .vgpr_count:     100
    .vgpr_spill_count: 0
    .wavefront_size: 64
amdhsa.target:   amdgcn-amd-amdhsa--gfx906
amdhsa.version:
  - 1
  - 2
...

	.end_amdgpu_metadata
